;; amdgpu-corpus repo=ROCm/rocFFT kind=compiled arch=gfx906 opt=O3
	.text
	.amdgcn_target "amdgcn-amd-amdhsa--gfx906"
	.amdhsa_code_object_version 6
	.protected	fft_rtc_fwd_len50_factors_10_5_wgs_250_tpt_10_dp_ip_CI_sbcc_dirReg_intrinsicReadWrite ; -- Begin function fft_rtc_fwd_len50_factors_10_5_wgs_250_tpt_10_dp_ip_CI_sbcc_dirReg_intrinsicReadWrite
	.globl	fft_rtc_fwd_len50_factors_10_5_wgs_250_tpt_10_dp_ip_CI_sbcc_dirReg_intrinsicReadWrite
	.p2align	8
	.type	fft_rtc_fwd_len50_factors_10_5_wgs_250_tpt_10_dp_ip_CI_sbcc_dirReg_intrinsicReadWrite,@function
fft_rtc_fwd_len50_factors_10_5_wgs_250_tpt_10_dp_ip_CI_sbcc_dirReg_intrinsicReadWrite: ; @fft_rtc_fwd_len50_factors_10_5_wgs_250_tpt_10_dp_ip_CI_sbcc_dirReg_intrinsicReadWrite
; %bb.0:
	s_load_dwordx4 s[0:3], s[4:5], 0x18
	s_mov_b32 s7, 0
	s_mov_b64 s[22:23], 0
	s_waitcnt lgkmcnt(0)
	s_load_dwordx2 s[10:11], s[0:1], 0x8
	s_waitcnt lgkmcnt(0)
	s_add_u32 s8, s10, -1
	s_addc_u32 s9, s11, -1
	s_add_u32 s12, 0, 0xd7093700
	s_addc_u32 s13, 0, 51
	s_mul_hi_u32 s15, s12, 0xffffffe7
	s_add_i32 s13, s13, 0xa3d7070
	s_sub_i32 s15, s15, s12
	s_mul_i32 s18, s13, 0xffffffe7
	s_mul_i32 s14, s12, 0xffffffe7
	s_add_i32 s15, s15, s18
	s_mul_hi_u32 s16, s13, s14
	s_mul_i32 s17, s13, s14
	s_mul_i32 s19, s12, s15
	s_mul_hi_u32 s14, s12, s14
	s_mul_hi_u32 s18, s12, s15
	s_add_u32 s14, s14, s19
	s_addc_u32 s18, 0, s18
	s_add_u32 s14, s14, s17
	s_mul_hi_u32 s19, s13, s15
	s_addc_u32 s14, s18, s16
	s_addc_u32 s16, s19, 0
	s_mul_i32 s15, s13, s15
	s_add_u32 s14, s14, s15
	v_mov_b32_e32 v1, s14
	s_addc_u32 s15, 0, s16
	v_add_co_u32_e32 v1, vcc, s12, v1
	s_cmp_lg_u64 vcc, 0
	s_addc_u32 s12, s13, s15
	v_readfirstlane_b32 s15, v1
	s_mul_i32 s14, s8, s12
	s_mul_hi_u32 s16, s8, s15
	s_mul_hi_u32 s13, s8, s12
	s_add_u32 s14, s16, s14
	s_addc_u32 s13, 0, s13
	s_mul_hi_u32 s17, s9, s15
	s_mul_i32 s15, s9, s15
	s_add_u32 s14, s14, s15
	s_mul_hi_u32 s16, s9, s12
	s_addc_u32 s13, s13, s17
	s_addc_u32 s14, s16, 0
	s_mul_i32 s12, s9, s12
	s_add_u32 s12, s13, s12
	s_addc_u32 s13, 0, s14
	s_add_u32 s14, s12, 1
	s_addc_u32 s15, s13, 0
	s_add_u32 s16, s12, 2
	s_mul_i32 s18, s13, 25
	s_mul_hi_u32 s19, s12, 25
	s_addc_u32 s17, s13, 0
	s_add_i32 s19, s19, s18
	s_mul_i32 s18, s12, 25
	v_mov_b32_e32 v1, s18
	v_sub_co_u32_e32 v1, vcc, s8, v1
	s_cmp_lg_u64 vcc, 0
	s_subb_u32 s8, s9, s19
	v_subrev_co_u32_e32 v2, vcc, 25, v1
	s_cmp_lg_u64 vcc, 0
	s_subb_u32 s9, s8, 0
	v_readfirstlane_b32 s18, v2
	s_cmp_gt_u32 s18, 24
	s_cselect_b32 s18, -1, 0
	s_cmp_eq_u32 s9, 0
	s_cselect_b32 s9, s18, -1
	s_cmp_lg_u32 s9, 0
	s_cselect_b32 s9, s16, s14
	s_cselect_b32 s14, s17, s15
	v_readfirstlane_b32 s15, v1
	s_cmp_gt_u32 s15, 24
	s_cselect_b32 s15, -1, 0
	s_cmp_eq_u32 s8, 0
	s_cselect_b32 s8, s15, -1
	s_cmp_lg_u32 s8, 0
	s_cselect_b32 s9, s9, s12
	s_cselect_b32 s8, s14, s13
	s_add_u32 s18, s9, 1
	s_addc_u32 s19, s8, 0
	v_mov_b32_e32 v1, s18
	v_mov_b32_e32 v2, s19
	v_cmp_lt_u64_e32 vcc, s[6:7], v[1:2]
	s_cbranch_vccnz .LBB0_2
; %bb.1:
	v_cvt_f32_u32_e32 v1, s18
	s_sub_i32 s8, 0, s18
	s_mov_b32 s23, s7
	v_rcp_iflag_f32_e32 v1, v1
	v_mul_f32_e32 v1, 0x4f7ffffe, v1
	v_cvt_u32_f32_e32 v1, v1
	v_readfirstlane_b32 s9, v1
	s_mul_i32 s8, s8, s9
	s_mul_hi_u32 s8, s9, s8
	s_add_i32 s9, s9, s8
	s_mul_hi_u32 s8, s6, s9
	s_mul_i32 s12, s8, s18
	s_sub_i32 s12, s6, s12
	s_add_i32 s9, s8, 1
	s_sub_i32 s13, s12, s18
	s_cmp_ge_u32 s12, s18
	s_cselect_b32 s8, s9, s8
	s_cselect_b32 s12, s13, s12
	s_add_i32 s9, s8, 1
	s_cmp_ge_u32 s12, s18
	s_cselect_b32 s22, s9, s8
.LBB0_2:
	s_load_dwordx2 s[16:17], s[4:5], 0x0
	s_load_dwordx4 s[12:15], s[2:3], 0x0
	s_load_dwordx2 s[8:9], s[4:5], 0x58
	s_load_dwordx2 s[20:21], s[4:5], 0x10
	s_mul_i32 s4, s22, s19
	s_mul_hi_u32 s5, s22, s18
	s_add_i32 s5, s5, s4
	s_mul_i32 s4, s22, s18
	s_sub_u32 s33, s6, s4
	s_subb_u32 s4, 0, s5
	s_mul_i32 s4, s4, 25
	s_waitcnt lgkmcnt(0)
	s_mul_hi_u32 s13, s33, 25
	s_add_i32 s13, s13, s4
	s_mul_i32 s33, s33, 25
	s_mul_i32 s4, s14, s13
	s_mul_hi_u32 s5, s14, s33
	s_add_i32 s4, s5, s4
	s_mul_i32 s5, s15, s33
	s_add_i32 s36, s4, s5
	v_cmp_lt_u64_e64 s[4:5], s[20:21], 3
	s_mul_i32 s15, s14, s33
	s_and_b64 vcc, exec, s[4:5]
	s_cbranch_vccnz .LBB0_10
; %bb.3:
	s_add_u32 s4, s2, 16
	s_addc_u32 s5, s3, 0
	s_add_u32 s24, s0, 16
	v_mov_b32_e32 v1, s20
	s_addc_u32 s25, s1, 0
	s_mov_b64 s[26:27], 2
	s_mov_b32 s28, 0
	v_mov_b32_e32 v2, s21
.LBB0_4:                                ; =>This Inner Loop Header: Depth=1
	s_load_dwordx2 s[30:31], s[24:25], 0x0
	s_waitcnt lgkmcnt(0)
	s_or_b64 s[0:1], s[22:23], s[30:31]
	s_mov_b32 s29, s1
	s_cmp_lg_u64 s[28:29], 0
	s_cbranch_scc0 .LBB0_9
; %bb.5:                                ;   in Loop: Header=BB0_4 Depth=1
	v_cvt_f32_u32_e32 v3, s30
	v_cvt_f32_u32_e32 v4, s31
	s_sub_u32 s0, 0, s30
	s_subb_u32 s1, 0, s31
	v_mac_f32_e32 v3, 0x4f800000, v4
	v_rcp_f32_e32 v3, v3
	v_mul_f32_e32 v3, 0x5f7ffffc, v3
	v_mul_f32_e32 v4, 0x2f800000, v3
	v_trunc_f32_e32 v4, v4
	v_mac_f32_e32 v3, 0xcf800000, v4
	v_cvt_u32_f32_e32 v4, v4
	v_cvt_u32_f32_e32 v3, v3
	v_readfirstlane_b32 s29, v4
	v_readfirstlane_b32 s34, v3
	s_mul_i32 s35, s0, s29
	s_mul_hi_u32 s38, s0, s34
	s_mul_i32 s37, s1, s34
	s_add_i32 s35, s38, s35
	s_mul_i32 s39, s0, s34
	s_add_i32 s35, s35, s37
	s_mul_hi_u32 s37, s34, s35
	s_mul_i32 s38, s34, s35
	s_mul_hi_u32 s34, s34, s39
	s_add_u32 s34, s34, s38
	s_addc_u32 s37, 0, s37
	s_mul_hi_u32 s40, s29, s39
	s_mul_i32 s39, s29, s39
	s_add_u32 s34, s34, s39
	s_mul_hi_u32 s38, s29, s35
	s_addc_u32 s34, s37, s40
	s_addc_u32 s37, s38, 0
	s_mul_i32 s35, s29, s35
	s_add_u32 s34, s34, s35
	s_addc_u32 s35, 0, s37
	v_add_co_u32_e32 v3, vcc, s34, v3
	s_cmp_lg_u64 vcc, 0
	s_addc_u32 s29, s29, s35
	v_readfirstlane_b32 s35, v3
	s_mul_i32 s34, s0, s29
	s_mul_hi_u32 s37, s0, s35
	s_add_i32 s34, s37, s34
	s_mul_i32 s1, s1, s35
	s_add_i32 s34, s34, s1
	s_mul_i32 s0, s0, s35
	s_mul_hi_u32 s37, s29, s0
	s_mul_i32 s38, s29, s0
	s_mul_i32 s40, s35, s34
	s_mul_hi_u32 s0, s35, s0
	s_mul_hi_u32 s39, s35, s34
	s_add_u32 s0, s0, s40
	s_addc_u32 s35, 0, s39
	s_add_u32 s0, s0, s38
	s_mul_hi_u32 s1, s29, s34
	s_addc_u32 s0, s35, s37
	s_addc_u32 s1, s1, 0
	s_mul_i32 s34, s29, s34
	s_add_u32 s0, s0, s34
	s_addc_u32 s1, 0, s1
	v_add_co_u32_e32 v3, vcc, s0, v3
	s_cmp_lg_u64 vcc, 0
	s_addc_u32 s0, s29, s1
	v_readfirstlane_b32 s34, v3
	s_mul_i32 s29, s22, s0
	s_mul_hi_u32 s35, s22, s34
	s_mul_hi_u32 s1, s22, s0
	s_add_u32 s29, s35, s29
	s_addc_u32 s1, 0, s1
	s_mul_hi_u32 s37, s23, s34
	s_mul_i32 s34, s23, s34
	s_add_u32 s29, s29, s34
	s_mul_hi_u32 s35, s23, s0
	s_addc_u32 s1, s1, s37
	s_addc_u32 s29, s35, 0
	s_mul_i32 s0, s23, s0
	s_add_u32 s34, s1, s0
	s_addc_u32 s29, 0, s29
	s_mul_i32 s0, s30, s29
	s_mul_hi_u32 s1, s30, s34
	s_add_i32 s0, s1, s0
	s_mul_i32 s1, s31, s34
	s_add_i32 s35, s0, s1
	s_mul_i32 s1, s30, s34
	v_mov_b32_e32 v3, s1
	s_sub_i32 s0, s23, s35
	v_sub_co_u32_e32 v3, vcc, s22, v3
	s_cmp_lg_u64 vcc, 0
	s_subb_u32 s37, s0, s31
	v_subrev_co_u32_e64 v4, s[0:1], s30, v3
	s_cmp_lg_u64 s[0:1], 0
	s_subb_u32 s0, s37, 0
	s_cmp_ge_u32 s0, s31
	v_readfirstlane_b32 s37, v4
	s_cselect_b32 s1, -1, 0
	s_cmp_ge_u32 s37, s30
	s_cselect_b32 s37, -1, 0
	s_cmp_eq_u32 s0, s31
	s_cselect_b32 s0, s37, s1
	s_add_u32 s1, s34, 1
	s_addc_u32 s37, s29, 0
	s_add_u32 s38, s34, 2
	s_addc_u32 s39, s29, 0
	s_cmp_lg_u32 s0, 0
	s_cselect_b32 s0, s38, s1
	s_cselect_b32 s1, s39, s37
	s_cmp_lg_u64 vcc, 0
	s_subb_u32 s35, s23, s35
	s_cmp_ge_u32 s35, s31
	v_readfirstlane_b32 s38, v3
	s_cselect_b32 s37, -1, 0
	s_cmp_ge_u32 s38, s30
	s_cselect_b32 s38, -1, 0
	s_cmp_eq_u32 s35, s31
	s_cselect_b32 s35, s38, s37
	s_cmp_lg_u32 s35, 0
	s_cselect_b32 s1, s1, s29
	s_cselect_b32 s0, s0, s34
	s_cbranch_execnz .LBB0_7
.LBB0_6:                                ;   in Loop: Header=BB0_4 Depth=1
	v_cvt_f32_u32_e32 v3, s30
	s_sub_i32 s0, 0, s30
	v_rcp_iflag_f32_e32 v3, v3
	v_mul_f32_e32 v3, 0x4f7ffffe, v3
	v_cvt_u32_f32_e32 v3, v3
	v_readfirstlane_b32 s1, v3
	s_mul_i32 s0, s0, s1
	s_mul_hi_u32 s0, s1, s0
	s_add_i32 s1, s1, s0
	s_mul_hi_u32 s0, s22, s1
	s_mul_i32 s29, s0, s30
	s_sub_i32 s29, s22, s29
	s_add_i32 s1, s0, 1
	s_sub_i32 s34, s29, s30
	s_cmp_ge_u32 s29, s30
	s_cselect_b32 s0, s1, s0
	s_cselect_b32 s29, s34, s29
	s_add_i32 s1, s0, 1
	s_cmp_ge_u32 s29, s30
	s_cselect_b32 s0, s1, s0
	s_mov_b32 s1, s28
.LBB0_7:                                ;   in Loop: Header=BB0_4 Depth=1
	s_mul_i32 s19, s30, s19
	s_mul_hi_u32 s29, s30, s18
	s_add_i32 s19, s29, s19
	s_mul_i32 s29, s31, s18
	s_add_i32 s19, s19, s29
	s_mul_i32 s29, s0, s31
	s_mul_hi_u32 s31, s0, s30
	s_load_dwordx2 s[34:35], s[4:5], 0x0
	s_add_i32 s29, s31, s29
	s_mul_i32 s31, s1, s30
	s_mul_i32 s18, s30, s18
	s_add_i32 s29, s29, s31
	s_mul_i32 s30, s0, s30
	s_sub_u32 s22, s22, s30
	s_subb_u32 s23, s23, s29
	s_waitcnt lgkmcnt(0)
	s_mul_i32 s23, s34, s23
	s_mul_hi_u32 s29, s34, s22
	s_add_i32 s23, s29, s23
	s_mul_i32 s29, s35, s22
	s_add_i32 s23, s23, s29
	s_mul_i32 s22, s34, s22
	s_add_u32 s15, s22, s15
	s_addc_u32 s36, s23, s36
	s_add_u32 s26, s26, 1
	s_addc_u32 s27, s27, 0
	;; [unrolled: 2-line block ×3, first 2 shown]
	v_cmp_ge_u64_e32 vcc, s[26:27], v[1:2]
	s_add_u32 s24, s24, 8
	s_addc_u32 s25, s25, 0
	s_cbranch_vccnz .LBB0_11
; %bb.8:                                ;   in Loop: Header=BB0_4 Depth=1
	s_mov_b64 s[22:23], s[0:1]
	s_branch .LBB0_4
.LBB0_9:                                ;   in Loop: Header=BB0_4 Depth=1
                                        ; implicit-def: $sgpr0_sgpr1
	s_branch .LBB0_6
.LBB0_10:
	v_mov_b32_e32 v1, s22
	v_mov_b32_e32 v2, s23
	s_branch .LBB0_13
.LBB0_11:
	v_mov_b32_e32 v1, s18
	v_mov_b32_e32 v2, s19
	v_cmp_lt_u64_e32 vcc, s[6:7], v[1:2]
	v_mov_b32_e32 v1, 0
	v_mov_b32_e32 v2, 0
	s_cbranch_vccnz .LBB0_13
; %bb.12:
	v_cvt_f32_u32_e32 v1, s18
	s_sub_i32 s0, 0, s18
	v_rcp_iflag_f32_e32 v1, v1
	v_mul_f32_e32 v1, 0x4f7ffffe, v1
	v_cvt_u32_f32_e32 v1, v1
	v_mul_lo_u32 v2, s0, v1
	v_mul_hi_u32 v2, v1, v2
	v_add_u32_e32 v1, v1, v2
	v_mul_hi_u32 v1, s6, v1
	v_mul_lo_u32 v2, v1, s18
	v_add_u32_e32 v3, 1, v1
	v_sub_u32_e32 v2, s6, v2
	v_subrev_u32_e32 v4, s18, v2
	v_cmp_le_u32_e32 vcc, s18, v2
	v_cndmask_b32_e32 v2, v2, v4, vcc
	v_cndmask_b32_e32 v1, v1, v3, vcc
	v_add_u32_e32 v3, 1, v1
	v_cmp_le_u32_e32 vcc, s18, v2
	v_cndmask_b32_e32 v1, v1, v3, vcc
.LBB0_13:
	s_lshl_b64 s[0:1], s[20:21], 3
	s_add_u32 s0, s2, s0
	s_addc_u32 s1, s3, s1
	s_load_dword s0, s[0:1], 0x0
	v_mul_u32_u24_e32 v4, 0xa3e, v0
	v_lshrrev_b32_e32 v44, 16, v4
	v_mov_b32_e32 v2, s10
	v_mul_lo_u16_e32 v4, 25, v44
	s_waitcnt lgkmcnt(0)
	v_mul_lo_u32 v1, s0, v1
	s_add_u32 s0, s33, 25
	v_mov_b32_e32 v3, s11
	v_sub_u16_e32 v43, v0, v4
	s_addc_u32 s1, s13, 0
	v_cmp_le_u64_e32 vcc, s[0:1], v[2:3]
	v_mad_u64_u32 v[41:42], s[0:1], s14, v43, 0
	s_movk_i32 s0, 0x7c
	v_add_u32_e32 v4, s15, v1
	v_cmp_lt_u32_e64 s[4:5], s0, v0
	v_mov_b32_e32 v2, s13
	v_add_co_u32_e64 v1, s[0:1], s33, v43
	v_addc_co_u32_e64 v2, s[0:1], 0, v2, s[0:1]
	s_movk_i32 s0, 0x7d
	v_cmp_gt_u32_e64 s[2:3], s0, v0
	v_cmp_gt_u64_e64 s[0:1], s[10:11], v[1:2]
	v_mul_lo_u32 v3, s12, v44
	v_cndmask_b32_e64 v5, 0, 1, s[2:3]
	v_cndmask_b32_e64 v1, 0, 1, s[0:1]
	s_or_b64 s[4:5], s[4:5], vcc
	v_cndmask_b32_e64 v1, v1, v5, s[4:5]
	v_and_b32_e32 v1, 1, v1
	v_add_lshl_u32 v2, v41, v3, 4
	v_cmp_eq_u32_e64 s[4:5], 1, v1
	v_add_u32_e32 v1, 5, v44
	v_cndmask_b32_e64 v45, -1, v2, s[4:5]
	v_mul_lo_u32 v1, s12, v1
	v_add_u32_e32 v2, 10, v44
	v_mul_lo_u32 v2, s12, v2
	v_add_u32_e32 v3, 15, v44
	v_mul_lo_u32 v3, s12, v3
	v_add_lshl_u32 v1, v41, v1, 4
	v_cndmask_b32_e64 v46, -1, v1, s[4:5]
	v_add_lshl_u32 v1, v41, v2, 4
	v_add_u32_e32 v2, 20, v44
	v_cndmask_b32_e64 v47, -1, v1, s[4:5]
	v_add_lshl_u32 v1, v41, v3, 4
	v_mul_lo_u32 v2, s12, v2
	v_add_u32_e32 v3, 25, v44
	v_mul_lo_u32 v3, s12, v3
	v_cndmask_b32_e64 v48, -1, v1, s[4:5]
	v_add_lshl_u32 v1, v41, v2, 4
	v_add_u32_e32 v2, 30, v44
	v_cndmask_b32_e64 v49, -1, v1, s[4:5]
	v_add_lshl_u32 v1, v41, v3, 4
	v_mul_lo_u32 v2, s12, v2
	v_add_u32_e32 v3, 35, v44
	v_mul_lo_u32 v3, s12, v3
	v_cndmask_b32_e64 v50, -1, v1, s[4:5]
	v_add_lshl_u32 v1, v41, v2, 4
	v_add_u32_e32 v2, 40, v44
	v_cndmask_b32_e64 v51, -1, v1, s[4:5]
	v_add_lshl_u32 v1, v41, v3, 4
	v_mul_lo_u32 v2, s12, v2
	v_add_u32_e32 v3, 45, v44
	v_mul_lo_u32 v3, s12, v3
	v_lshlrev_b32_e32 v42, 4, v4
	v_cndmask_b32_e64 v52, -1, v1, s[4:5]
	v_add_lshl_u32 v1, v41, v2, 4
	s_mov_b32 s11, 0x20000
	s_mov_b32 s10, -2
	v_readfirstlane_b32 s6, v42
	v_cndmask_b32_e64 v53, -1, v1, s[4:5]
	v_add_lshl_u32 v1, v41, v3, 4
	v_cndmask_b32_e64 v54, -1, v1, s[4:5]
	s_nop 1
	buffer_load_dwordx4 v[37:40], v45, s[8:11], s6 offen
	buffer_load_dwordx4 v[17:20], v46, s[8:11], s6 offen
	;; [unrolled: 1-line block ×10, first 2 shown]
	v_lshlrev_b32_e32 v43, 4, v43
	s_and_saveexec_b64 s[4:5], s[2:3]
	s_cbranch_execz .LBB0_15
; %bb.14:
	s_waitcnt vmcnt(3)
	v_add_f64 v[45:46], v[31:32], v[23:24]
	s_waitcnt vmcnt(1)
	v_add_f64 v[47:48], v[35:36], v[27:28]
	v_add_f64 v[49:50], v[29:30], v[21:22]
	;; [unrolled: 1-line block ×4, first 2 shown]
	v_add_f64 v[55:56], v[33:34], -v[25:26]
	v_add_f64 v[59:60], v[33:34], -v[29:30]
	;; [unrolled: 1-line block ×3, first 2 shown]
	v_fma_f64 v[45:46], v[45:46], -0.5, v[39:40]
	v_fma_f64 v[39:40], v[47:48], -0.5, v[39:40]
	;; [unrolled: 1-line block ×4, first 2 shown]
	v_add_f64 v[37:38], v[37:38], v[33:34]
	v_add_f64 v[53:54], v[53:54], v[31:32]
	v_add_f64 v[33:34], v[29:30], -v[33:34]
	s_waitcnt vmcnt(0)
	v_add_f64 v[65:66], v[9:10], v[5:6]
	v_add_f64 v[51:52], v[35:36], -v[31:32]
	v_add_f64 v[57:58], v[31:32], -v[35:36]
	;; [unrolled: 1-line block ×4, first 2 shown]
	v_add_f64 v[37:38], v[37:38], v[29:30]
	v_add_f64 v[29:30], v[29:30], -v[21:22]
	v_add_f64 v[53:54], v[53:54], v[23:24]
	v_add_f64 v[61:62], v[27:28], -v[23:24]
	v_add_f64 v[23:24], v[23:24], -v[27:28]
	v_fma_f64 v[65:66], v[65:66], -0.5, v[17:18]
	v_add_f64 v[67:68], v[11:12], v[7:8]
	v_add_f64 v[69:70], v[9:10], -v[13:14]
	v_add_f64 v[37:38], v[37:38], v[21:22]
	v_add_f64 v[21:22], v[21:22], -v[25:26]
	v_add_f64 v[53:54], v[53:54], v[27:28]
	v_add_f64 v[27:28], v[15:16], v[3:4]
	v_add_f64 v[75:76], v[13:14], -v[1:2]
	s_mov_b32 s14, 0x134454ff
	v_fma_f64 v[67:68], v[67:68], -0.5, v[19:20]
	s_mov_b32 s15, 0x3fee6f0e
	v_add_f64 v[37:38], v[37:38], v[25:26]
	v_add_f64 v[25:26], v[13:14], v[1:2]
	v_add_f64 v[71:72], v[15:16], -v[3:4]
	v_fma_f64 v[27:28], v[27:28], -0.5, v[19:20]
	v_add_f64 v[19:20], v[19:20], v[11:12]
	v_add_f64 v[73:74], v[11:12], -v[15:16]
	v_add_f64 v[77:78], v[5:6], -v[1:2]
	;; [unrolled: 1-line block ×4, first 2 shown]
	v_fma_f64 v[25:26], v[25:26], -0.5, v[17:18]
	v_add_f64 v[17:18], v[17:18], v[9:10]
	s_mov_b32 s2, 0x4755a5e
	v_add_f64 v[19:20], v[19:20], v[15:16]
	v_add_f64 v[15:16], v[15:16], -v[11:12]
	v_add_f64 v[11:12], v[11:12], -v[7:8]
	s_mov_b32 s3, 0x3fe2cf23
	s_mov_b32 s21, 0xbfee6f0e
	;; [unrolled: 1-line block ×3, first 2 shown]
	v_add_f64 v[17:18], v[17:18], v[13:14]
	v_add_f64 v[13:14], v[13:14], -v[9:10]
	v_add_f64 v[9:10], v[9:10], -v[5:6]
	v_add_f64 v[19:20], v[19:20], v[3:4]
	v_add_f64 v[83:84], v[3:4], -v[7:8]
	v_fma_f64 v[3:4], v[11:12], s[20:21], v[25:26]
	s_mov_b32 s18, 0x372fe950
	s_mov_b32 s7, 0xbfe2cf23
	v_add_f64 v[17:18], v[17:18], v[1:2]
	s_mov_b32 s6, s2
	v_fma_f64 v[1:2], v[9:10], s[14:15], v[27:28]
	s_mov_b32 s19, 0x3fd3c6ef
	v_add_f64 v[85:86], v[19:20], v[7:8]
	v_add_f64 v[19:20], v[69:70], v[77:78]
	v_fma_f64 v[3:4], v[71:72], s[6:7], v[3:4]
	s_mov_b32 s22, 0x9b97f4a8
	v_add_f64 v[87:88], v[17:18], v[5:6]
	v_add_f64 v[17:18], v[51:52], v[61:62]
	;; [unrolled: 1-line block ×3, first 2 shown]
	v_fma_f64 v[1:2], v[75:76], s[2:3], v[1:2]
	s_mov_b32 s23, 0x3fe9e377
	v_add_f64 v[21:22], v[33:34], v[21:22]
	v_fma_f64 v[3:4], v[19:20], s[18:19], v[3:4]
	v_fma_f64 v[33:34], v[75:76], s[20:21], v[67:68]
	v_add_f64 v[59:60], v[59:60], v[63:64]
	v_add_f64 v[23:24], v[57:58], v[23:24]
	;; [unrolled: 1-line block ×3, first 2 shown]
	v_fma_f64 v[1:2], v[51:52], s[18:19], v[1:2]
	v_fma_f64 v[57:58], v[71:72], s[14:15], v[65:66]
	v_add_f64 v[13:14], v[13:14], v[81:82]
	v_fma_f64 v[33:34], v[9:10], s[2:3], v[33:34]
	v_mul_f64 v[5:6], v[1:2], s[22:23]
	v_fma_f64 v[57:58], v[11:12], s[6:7], v[57:58]
	v_fma_f64 v[33:34], v[15:16], s[18:19], v[33:34]
	v_fma_f64 v[5:6], v[3:4], s[6:7], -v[5:6]
	v_mul_f64 v[3:4], v[3:4], s[22:23]
	v_fma_f64 v[57:58], v[13:14], s[18:19], v[57:58]
	v_fma_f64 v[61:62], v[1:2], s[2:3], -v[3:4]
	v_fma_f64 v[1:2], v[55:56], s[14:15], v[45:46]
	v_fma_f64 v[3:4], v[35:36], s[20:21], v[47:48]
	;; [unrolled: 1-line block ×6, first 2 shown]
	v_add_f64 v[3:4], v[7:8], -v[5:6]
	v_add_f64 v[1:2], v[63:64], -v[61:62]
	v_add_f64 v[7:8], v[7:8], v[5:6]
	v_add_f64 v[5:6], v[63:64], v[61:62]
	v_mul_f64 v[61:62], v[33:34], s[18:19]
	v_fma_f64 v[61:62], v[57:58], s[20:21], -v[61:62]
	v_mul_f64 v[57:58], v[57:58], s[18:19]
	v_fma_f64 v[33:34], v[33:34], s[14:15], -v[57:58]
	v_fma_f64 v[57:58], v[71:72], s[20:21], v[65:66]
	v_fma_f64 v[57:58], v[11:12], s[2:3], v[57:58]
	;; [unrolled: 1-line block ×17, first 2 shown]
	v_mul_f64 v[11:12], v[13:14], s[20:21]
	v_fma_f64 v[25:26], v[29:30], s[6:7], v[25:26]
	v_fma_f64 v[27:28], v[23:24], s[18:19], v[27:28]
	;; [unrolled: 1-line block ×6, first 2 shown]
	v_mul_f64 v[9:10], v[15:16], s[14:15]
	v_fma_f64 v[51:52], v[17:18], s[18:19], v[25:26]
	v_fma_f64 v[39:40], v[35:36], s[6:7], v[39:40]
	v_fma_f64 v[35:36], v[35:36], s[14:15], v[47:48]
	v_mul_f64 v[47:48], v[19:20], s[6:7]
	v_fma_f64 v[49:50], v[13:14], s[18:19], v[9:10]
	v_fma_f64 v[39:40], v[21:22], s[18:19], v[39:40]
	v_fma_f64 v[31:32], v[31:32], s[2:3], v[35:36]
	;; [unrolled: 4-line block ×3, first 2 shown]
	v_add_f64 v[29:30], v[37:38], v[87:88]
	v_add_f64 v[11:12], v[27:28], -v[61:62]
	v_add_f64 v[9:10], v[39:40], -v[33:34]
	v_add_f64 v[13:14], v[39:40], v[33:34]
	v_fma_f64 v[33:34], v[59:60], s[18:19], v[31:32]
	v_fma_f64 v[39:40], v[19:20], s[22:23], v[35:36]
	v_add_f64 v[31:32], v[53:54], v[85:86]
	v_add_f64 v[15:16], v[27:28], v[61:62]
	;; [unrolled: 1-line block ×3, first 2 shown]
	v_add_f64 v[19:20], v[23:24], -v[45:46]
	v_add_f64 v[17:18], v[21:22], -v[49:50]
	v_add_f64 v[23:24], v[23:24], v[45:46]
	v_add_f64 v[21:22], v[21:22], v[49:50]
	;; [unrolled: 1-line block ×3, first 2 shown]
	v_add_f64 v[33:34], v[33:34], -v[39:40]
	v_add_f64 v[39:40], v[53:54], -v[85:86]
	v_add_f64 v[37:38], v[37:38], -v[87:88]
	v_add_f64 v[35:36], v[51:52], -v[47:48]
	v_mul_u32_u24_e32 v45, 0xfa0, v44
	v_add3_u32 v45, 0, v45, v43
	ds_write_b128 v45, v[29:32]
	ds_write_b128 v45, v[25:28] offset:400
	ds_write_b128 v45, v[21:24] offset:800
	ds_write_b128 v45, v[13:16] offset:1200
	ds_write_b128 v45, v[5:8] offset:1600
	ds_write_b128 v45, v[37:40] offset:2000
	ds_write_b128 v45, v[33:36] offset:2400
	ds_write_b128 v45, v[17:20] offset:2800
	ds_write_b128 v45, v[9:12] offset:3200
	ds_write_b128 v45, v[1:4] offset:3600
.LBB0_15:
	s_or_b64 exec, exec, s[4:5]
	s_waitcnt vmcnt(2)
	v_mul_lo_u16_e32 v1, 26, v44
	v_mov_b32_e32 v2, 10
	v_mul_lo_u16_sdwa v1, v1, v2 dst_sel:DWORD dst_unused:UNUSED_PAD src0_sel:BYTE_1 src1_sel:DWORD
	v_sub_u16_e32 v37, v44, v1
	v_mov_b32_e32 v1, 6
	v_lshlrev_b32_sdwa v17, v1, v37 dst_sel:DWORD dst_unused:UNUSED_PAD src0_sel:DWORD src1_sel:BYTE_0
	s_waitcnt vmcnt(0) lgkmcnt(0)
	s_barrier
	global_load_dwordx4 v[1:4], v17, s[16:17]
	global_load_dwordx4 v[5:8], v17, s[16:17] offset:16
	global_load_dwordx4 v[9:12], v17, s[16:17] offset:32
	;; [unrolled: 1-line block ×3, first 2 shown]
	s_movk_i32 s13, 0x107
	v_mov_b32_e32 v38, 50
	v_mul_u32_u24_sdwa v0, v0, s13 dst_sel:DWORD dst_unused:UNUSED_PAD src0_sel:WORD_0 src1_sel:DWORD
	v_mul_u32_u24_e32 v17, 0x190, v44
	v_mul_lo_u16_sdwa v0, v0, v38 dst_sel:DWORD dst_unused:UNUSED_PAD src0_sel:WORD_1 src1_sel:DWORD
	v_add3_u32 v33, 0, v17, v43
	v_add_u32_sdwa v0, v37, v0 dst_sel:DWORD dst_unused:UNUSED_PAD src0_sel:BYTE_0 src1_sel:DWORD
	ds_read_b128 v[17:20], v33
	ds_read_b128 v[21:24], v33 offset:4000
	ds_read_b128 v[25:28], v33 offset:8000
	;; [unrolled: 1-line block ×4, first 2 shown]
	v_add_u32_e32 v38, 10, v0
	v_add_u32_e32 v39, 20, v0
	v_mul_lo_u32 v37, s12, v0
	v_mul_lo_u32 v38, s12, v38
	;; [unrolled: 1-line block ×3, first 2 shown]
	v_add_u32_e32 v40, 30, v0
	v_add_u32_e32 v0, 40, v0
	v_readfirstlane_b32 s18, v42
	v_mul_lo_u32 v46, s12, v40
	v_mul_lo_u32 v47, s12, v0
	v_add_lshl_u32 v0, v41, v37, 4
	v_add_lshl_u32 v48, v41, v38, 4
	;; [unrolled: 1-line block ×3, first 2 shown]
	s_or_b64 vcc, vcc, s[0:1]
	v_cndmask_b32_e32 v53, -1, v0, vcc
	v_add_lshl_u32 v55, v41, v46, 4
	v_add_lshl_u32 v56, v41, v47, 4
	s_mov_b32 s6, 0x134454ff
	s_mov_b32 s7, 0x3fee6f0e
	;; [unrolled: 1-line block ×4, first 2 shown]
	v_cndmask_b32_e32 v57, -1, v48, vcc
	s_mov_b32 s2, 0x4755a5e
	s_mov_b32 s3, 0x3fe2cf23
	;; [unrolled: 1-line block ×6, first 2 shown]
	s_waitcnt vmcnt(3) lgkmcnt(3)
	v_mul_f64 v[37:38], v[23:24], v[3:4]
	v_mul_f64 v[3:4], v[21:22], v[3:4]
	s_waitcnt vmcnt(2) lgkmcnt(2)
	v_mul_f64 v[39:40], v[27:28], v[7:8]
	v_mul_f64 v[7:8], v[25:26], v[7:8]
	s_waitcnt vmcnt(1) lgkmcnt(1)
	v_mul_f64 v[42:43], v[31:32], v[11:12]
	s_waitcnt vmcnt(0) lgkmcnt(0)
	v_mul_f64 v[44:45], v[33:34], v[15:16]
	v_mul_f64 v[11:12], v[29:30], v[11:12]
	;; [unrolled: 1-line block ×3, first 2 shown]
	v_fma_f64 v[21:22], v[21:22], v[1:2], -v[37:38]
	v_fma_f64 v[0:1], v[23:24], v[1:2], v[3:4]
	v_fma_f64 v[2:3], v[25:26], v[5:6], -v[39:40]
	v_fma_f64 v[4:5], v[27:28], v[5:6], v[7:8]
	;; [unrolled: 2-line block ×3, first 2 shown]
	v_fma_f64 v[8:9], v[31:32], v[9:10], v[11:12]
	v_fma_f64 v[10:11], v[33:34], v[13:14], -v[15:16]
	v_add_f64 v[12:13], v[17:18], v[21:22]
	v_add_f64 v[39:40], v[19:20], v[0:1]
	v_add_f64 v[29:30], v[21:22], -v[2:3]
	v_add_f64 v[35:36], v[2:3], -v[21:22]
	v_add_f64 v[14:15], v[2:3], v[6:7]
	v_add_f64 v[49:50], v[0:1], v[23:24]
	;; [unrolled: 1-line block ×3, first 2 shown]
	v_add_f64 v[31:32], v[10:11], -v[6:7]
	v_add_f64 v[33:34], v[21:22], v[10:11]
	v_add_f64 v[25:26], v[0:1], -v[23:24]
	v_add_f64 v[27:28], v[4:5], -v[8:9]
	;; [unrolled: 1-line block ×8, first 2 shown]
	v_add_f64 v[2:3], v[12:13], v[2:3]
	v_fma_f64 v[12:13], v[14:15], -0.5, v[17:18]
	v_add_f64 v[14:15], v[29:30], v[31:32]
	v_add_f64 v[4:5], v[39:40], v[4:5]
	v_fma_f64 v[31:32], v[41:42], -0.5, v[19:20]
	v_fma_f64 v[16:17], v[33:34], -0.5, v[17:18]
	;; [unrolled: 1-line block ×3, first 2 shown]
	v_add_f64 v[47:48], v[23:24], -v[8:9]
	v_add_f64 v[29:30], v[35:36], v[37:38]
	v_add_f64 v[35:36], v[0:1], v[51:52]
	;; [unrolled: 1-line block ×3, first 2 shown]
	v_fma_f64 v[2:3], v[25:26], s[6:7], v[12:13]
	v_fma_f64 v[6:7], v[25:26], s[16:17], v[12:13]
	v_add_f64 v[4:5], v[4:5], v[8:9]
	v_fma_f64 v[8:9], v[21:22], s[16:17], v[31:32]
	v_fma_f64 v[12:13], v[27:28], s[16:17], v[16:17]
	v_fma_f64 v[16:17], v[27:28], s[6:7], v[16:17]
	v_fma_f64 v[37:38], v[43:44], s[6:7], v[18:19]
	v_fma_f64 v[18:19], v[43:44], s[16:17], v[18:19]
	v_fma_f64 v[31:32], v[21:22], s[6:7], v[31:32]
	v_add_f64 v[33:34], v[45:46], v[47:48]
	v_add_f64 v[0:1], v[0:1], v[10:11]
	v_fma_f64 v[10:11], v[27:28], s[2:3], v[2:3]
	v_fma_f64 v[6:7], v[27:28], s[14:15], v[6:7]
	v_add_f64 v[2:3], v[4:5], v[23:24]
	v_fma_f64 v[23:24], v[43:44], s[14:15], v[8:9]
	v_fma_f64 v[12:13], v[25:26], s[2:3], v[12:13]
	;; [unrolled: 1-line block ×14, first 2 shown]
	v_cndmask_b32_e32 v20, -1, v54, vcc
	v_cndmask_b32_e32 v21, -1, v55, vcc
	;; [unrolled: 1-line block ×3, first 2 shown]
	buffer_store_dwordx4 v[0:3], v53, s[8:11], s18 offen
	buffer_store_dwordx4 v[4:7], v57, s[8:11], s18 offen
	;; [unrolled: 1-line block ×5, first 2 shown]
	s_endpgm
	.section	.rodata,"a",@progbits
	.p2align	6, 0x0
	.amdhsa_kernel fft_rtc_fwd_len50_factors_10_5_wgs_250_tpt_10_dp_ip_CI_sbcc_dirReg_intrinsicReadWrite
		.amdhsa_group_segment_fixed_size 0
		.amdhsa_private_segment_fixed_size 0
		.amdhsa_kernarg_size 96
		.amdhsa_user_sgpr_count 6
		.amdhsa_user_sgpr_private_segment_buffer 1
		.amdhsa_user_sgpr_dispatch_ptr 0
		.amdhsa_user_sgpr_queue_ptr 0
		.amdhsa_user_sgpr_kernarg_segment_ptr 1
		.amdhsa_user_sgpr_dispatch_id 0
		.amdhsa_user_sgpr_flat_scratch_init 0
		.amdhsa_user_sgpr_private_segment_size 0
		.amdhsa_uses_dynamic_stack 0
		.amdhsa_system_sgpr_private_segment_wavefront_offset 0
		.amdhsa_system_sgpr_workgroup_id_x 1
		.amdhsa_system_sgpr_workgroup_id_y 0
		.amdhsa_system_sgpr_workgroup_id_z 0
		.amdhsa_system_sgpr_workgroup_info 0
		.amdhsa_system_vgpr_workitem_id 0
		.amdhsa_next_free_vgpr 89
		.amdhsa_next_free_sgpr 41
		.amdhsa_reserve_vcc 1
		.amdhsa_reserve_flat_scratch 0
		.amdhsa_float_round_mode_32 0
		.amdhsa_float_round_mode_16_64 0
		.amdhsa_float_denorm_mode_32 3
		.amdhsa_float_denorm_mode_16_64 3
		.amdhsa_dx10_clamp 1
		.amdhsa_ieee_mode 1
		.amdhsa_fp16_overflow 0
		.amdhsa_exception_fp_ieee_invalid_op 0
		.amdhsa_exception_fp_denorm_src 0
		.amdhsa_exception_fp_ieee_div_zero 0
		.amdhsa_exception_fp_ieee_overflow 0
		.amdhsa_exception_fp_ieee_underflow 0
		.amdhsa_exception_fp_ieee_inexact 0
		.amdhsa_exception_int_div_zero 0
	.end_amdhsa_kernel
	.text
.Lfunc_end0:
	.size	fft_rtc_fwd_len50_factors_10_5_wgs_250_tpt_10_dp_ip_CI_sbcc_dirReg_intrinsicReadWrite, .Lfunc_end0-fft_rtc_fwd_len50_factors_10_5_wgs_250_tpt_10_dp_ip_CI_sbcc_dirReg_intrinsicReadWrite
                                        ; -- End function
	.section	.AMDGPU.csdata,"",@progbits
; Kernel info:
; codeLenInByte = 4436
; NumSgprs: 45
; NumVgprs: 89
; ScratchSize: 0
; MemoryBound: 0
; FloatMode: 240
; IeeeMode: 1
; LDSByteSize: 0 bytes/workgroup (compile time only)
; SGPRBlocks: 5
; VGPRBlocks: 22
; NumSGPRsForWavesPerEU: 45
; NumVGPRsForWavesPerEU: 89
; Occupancy: 2
; WaveLimiterHint : 0
; COMPUTE_PGM_RSRC2:SCRATCH_EN: 0
; COMPUTE_PGM_RSRC2:USER_SGPR: 6
; COMPUTE_PGM_RSRC2:TRAP_HANDLER: 0
; COMPUTE_PGM_RSRC2:TGID_X_EN: 1
; COMPUTE_PGM_RSRC2:TGID_Y_EN: 0
; COMPUTE_PGM_RSRC2:TGID_Z_EN: 0
; COMPUTE_PGM_RSRC2:TIDIG_COMP_CNT: 0
	.type	__hip_cuid_11e7708d4b3a8a91,@object ; @__hip_cuid_11e7708d4b3a8a91
	.section	.bss,"aw",@nobits
	.globl	__hip_cuid_11e7708d4b3a8a91
__hip_cuid_11e7708d4b3a8a91:
	.byte	0                               ; 0x0
	.size	__hip_cuid_11e7708d4b3a8a91, 1

	.ident	"AMD clang version 19.0.0git (https://github.com/RadeonOpenCompute/llvm-project roc-6.4.0 25133 c7fe45cf4b819c5991fe208aaa96edf142730f1d)"
	.section	".note.GNU-stack","",@progbits
	.addrsig
	.addrsig_sym __hip_cuid_11e7708d4b3a8a91
	.amdgpu_metadata
---
amdhsa.kernels:
  - .args:
      - .actual_access:  read_only
        .address_space:  global
        .offset:         0
        .size:           8
        .value_kind:     global_buffer
      - .address_space:  global
        .offset:         8
        .size:           8
        .value_kind:     global_buffer
      - .offset:         16
        .size:           8
        .value_kind:     by_value
      - .actual_access:  read_only
        .address_space:  global
        .offset:         24
        .size:           8
        .value_kind:     global_buffer
      - .actual_access:  read_only
        .address_space:  global
        .offset:         32
        .size:           8
        .value_kind:     global_buffer
      - .offset:         40
        .size:           8
        .value_kind:     by_value
      - .actual_access:  read_only
        .address_space:  global
        .offset:         48
        .size:           8
        .value_kind:     global_buffer
      - .actual_access:  read_only
        .address_space:  global
        .offset:         56
        .size:           8
        .value_kind:     global_buffer
      - .offset:         64
        .size:           4
        .value_kind:     by_value
      - .actual_access:  read_only
        .address_space:  global
        .offset:         72
        .size:           8
        .value_kind:     global_buffer
      - .actual_access:  read_only
        .address_space:  global
        .offset:         80
        .size:           8
        .value_kind:     global_buffer
      - .address_space:  global
        .offset:         88
        .size:           8
        .value_kind:     global_buffer
    .group_segment_fixed_size: 0
    .kernarg_segment_align: 8
    .kernarg_segment_size: 96
    .language:       OpenCL C
    .language_version:
      - 2
      - 0
    .max_flat_workgroup_size: 250
    .name:           fft_rtc_fwd_len50_factors_10_5_wgs_250_tpt_10_dp_ip_CI_sbcc_dirReg_intrinsicReadWrite
    .private_segment_fixed_size: 0
    .sgpr_count:     45
    .sgpr_spill_count: 0
    .symbol:         fft_rtc_fwd_len50_factors_10_5_wgs_250_tpt_10_dp_ip_CI_sbcc_dirReg_intrinsicReadWrite.kd
    .uniform_work_group_size: 1
    .uses_dynamic_stack: false
    .vgpr_count:     89
    .vgpr_spill_count: 0
    .wavefront_size: 64
amdhsa.target:   amdgcn-amd-amdhsa--gfx906
amdhsa.version:
  - 1
  - 2
...

	.end_amdgpu_metadata
